;; amdgpu-corpus repo=ROCm/rocFFT kind=compiled arch=gfx950 opt=O3
	.text
	.amdgcn_target "amdgcn-amd-amdhsa--gfx950"
	.amdhsa_code_object_version 6
	.protected	bluestein_single_fwd_len1344_dim1_sp_op_CI_CI ; -- Begin function bluestein_single_fwd_len1344_dim1_sp_op_CI_CI
	.globl	bluestein_single_fwd_len1344_dim1_sp_op_CI_CI
	.p2align	8
	.type	bluestein_single_fwd_len1344_dim1_sp_op_CI_CI,@function
bluestein_single_fwd_len1344_dim1_sp_op_CI_CI: ; @bluestein_single_fwd_len1344_dim1_sp_op_CI_CI
; %bb.0:
	s_load_dwordx4 s[12:15], s[0:1], 0x28
	v_mul_u32_u24_e32 v1, 0x125, v0
	v_add_u32_sdwa v30, s2, v1 dst_sel:DWORD dst_unused:UNUSED_PAD src0_sel:DWORD src1_sel:WORD_1
	v_mov_b32_e32 v31, 0
	s_waitcnt lgkmcnt(0)
	v_cmp_gt_u64_e32 vcc, s[12:13], v[30:31]
	s_and_saveexec_b64 s[2:3], vcc
	s_cbranch_execz .LBB0_12
; %bb.1:
	s_load_dwordx4 s[4:7], s[0:1], 0x18
	s_load_dwordx4 s[8:11], s[0:1], 0x0
	v_mov_b32_e32 v2, s14
	v_mov_b32_e32 v3, s15
	s_movk_i32 s2, 0xe0
	s_waitcnt lgkmcnt(0)
	s_load_dwordx4 s[12:15], s[4:5], 0x0
	v_mul_lo_u16_sdwa v1, v1, s2 dst_sel:DWORD dst_unused:UNUSED_PAD src0_sel:WORD_1 src1_sel:DWORD
	v_sub_u16_e32 v88, v0, v1
	v_mov_b32_e32 v16, 0x1500
	v_lshlrev_b32_e32 v28, 3, v88
	s_waitcnt lgkmcnt(0)
	v_mad_u64_u32 v[0:1], s[2:3], s14, v30, 0
	v_mov_b32_e32 v4, v1
	v_mad_u64_u32 v[4:5], s[2:3], s15, v30, v[4:5]
	v_mov_b32_e32 v1, v4
	v_mad_u64_u32 v[4:5], s[2:3], s12, v88, 0
	v_mov_b32_e32 v6, v5
	v_mad_u64_u32 v[6:7], s[2:3], s13, v88, v[6:7]
	v_mov_b32_e32 v5, v6
	v_lshl_add_u64 v[0:1], v[0:1], 3, v[2:3]
	v_lshl_add_u64 v[0:1], v[4:5], 3, v[0:1]
	global_load_dwordx2 v[2:3], v[0:1], off
	v_mov_b32_e32 v29, v31
	v_mad_u64_u32 v[0:1], s[2:3], s12, v16, v[0:1]
	s_mul_i32 s4, s13, 0x1500
	v_lshl_add_u64 v[4:5], s[8:9], 0, v[28:29]
	v_add_u32_e32 v1, s4, v1
	s_movk_i32 s2, 0x1000
	v_mov_b32_e32 v12, 0xfffff200
	global_load_dwordx2 v[6:7], v[0:1], off
	v_add_co_u32_e32 v8, vcc, s2, v4
	v_mad_u64_u32 v[0:1], s[2:3], s12, v12, v[0:1]
	s_mul_i32 s2, s13, 0xfffff200
	s_sub_i32 s5, s2, s12
	v_add_u32_e32 v1, s5, v1
	v_mad_u64_u32 v[10:11], s[2:3], s12, v16, v[0:1]
	v_addc_co_u32_e32 v9, vcc, 0, v5, vcc
	v_add_u32_e32 v11, s4, v11
	global_load_dwordx2 v[42:43], v28, s[8:9]
	global_load_dwordx2 v[38:39], v28, s[8:9] offset:1792
	global_load_dwordx2 v[40:41], v[8:9], off offset:1280
	global_load_dwordx2 v[34:35], v[8:9], off offset:3072
	v_mad_u64_u32 v[8:9], s[2:3], s12, v12, v[10:11]
	v_add_u32_e32 v9, s5, v9
	global_load_dwordx2 v[0:1], v[0:1], off
	s_nop 0
	global_load_dwordx2 v[12:13], v[10:11], off
	global_load_dwordx2 v[14:15], v[8:9], off
	global_load_dwordx2 v[32:33], v28, s[8:9] offset:3584
	v_mad_u64_u32 v[8:9], s[2:3], s12, v16, v[8:9]
	s_movk_i32 s2, 0x2000
	s_nop 0
	v_add_co_u32_e32 v4, vcc, s2, v4
	v_add_u32_e32 v9, s4, v9
	s_nop 0
	v_addc_co_u32_e32 v5, vcc, 0, v5, vcc
	global_load_dwordx2 v[36:37], v[4:5], off offset:768
	global_load_dwordx2 v[10:11], v[8:9], off
	v_add_u32_e32 v8, 0x1c00, v28
	v_add_u32_e32 v9, 0xe00, v28
	s_load_dwordx4 s[4:7], s[6:7], 0x0
	v_lshlrev_b32_e32 v22, 1, v88
	v_lshlrev_b32_e32 v31, 4, v88
	;; [unrolled: 1-line block ×3, first 2 shown]
	s_movk_i32 s2, 0x1fc
	v_add_u32_e32 v29, 0xe0, v88
	s_movk_i32 s3, 0x3fc
	s_movk_i32 s12, 0x7fc
	v_lshlrev_b32_e32 v24, 1, v29
	v_add_u32_e32 v55, 0x380, v22
	v_and_b32_e32 v23, 3, v88
	v_lshlrev_b32_e32 v25, 3, v23
	v_and_b32_e32 v27, 63, v29
                                        ; implicit-def: $vgpr74_vgpr75
	s_waitcnt vmcnt(9)
	v_mul_f32_e32 v4, v3, v43
	v_mul_f32_e32 v5, v2, v43
	v_fmac_f32_e32 v4, v2, v42
	v_fma_f32 v5, v3, v42, -v5
	s_waitcnt vmcnt(7)
	v_mul_f32_e32 v2, v7, v41
	v_mul_f32_e32 v3, v6, v41
	v_fmac_f32_e32 v2, v6, v40
	v_fma_f32 v3, v7, v40, -v3
	ds_write_b64 v28, v[2:3] offset:5376
	s_waitcnt vmcnt(5)
	v_mul_f32_e32 v2, v1, v39
	v_mul_f32_e32 v3, v0, v39
	v_fmac_f32_e32 v2, v0, v38
	v_fma_f32 v3, v1, v38, -v3
	ds_write2_b64 v28, v[4:5], v[2:3] offset1:224
	s_waitcnt vmcnt(2)
	v_mul_f32_e32 v2, v15, v33
	v_mul_f32_e32 v3, v14, v33
	v_fmac_f32_e32 v2, v14, v32
	v_fma_f32 v3, v15, v32, -v3
	v_mul_f32_e32 v0, v13, v35
	v_mul_f32_e32 v1, v12, v35
	ds_write_b64 v28, v[2:3] offset:3584
	s_waitcnt vmcnt(0)
	v_mul_f32_e32 v2, v11, v37
	v_mul_f32_e32 v3, v10, v37
	v_fmac_f32_e32 v0, v12, v34
	v_fma_f32 v1, v13, v34, -v1
	v_fmac_f32_e32 v2, v10, v36
	v_fma_f32 v3, v11, v36, -v3
	ds_write2_b64 v8, v[0:1], v[2:3] offset1:224
	s_waitcnt lgkmcnt(0)
	s_barrier
	ds_read2_b64 v[0:3], v28 offset1:224
	ds_read2_b64 v[4:7], v9 offset1:224
	ds_read2_b64 v[10:13], v8 offset1:224
	s_waitcnt lgkmcnt(0)
	s_barrier
	v_pk_add_f32 v[14:15], v[0:1], v[6:7] neg_lo:[0,1] neg_hi:[0,1]
	v_pk_add_f32 v[6:7], v[4:5], v[12:13] neg_lo:[0,1] neg_hi:[0,1]
	v_pk_fma_f32 v[12:13], v[0:1], 2.0, v[14:15] op_sel_hi:[1,0,1] neg_lo:[0,0,1] neg_hi:[0,0,1]
	v_and_b32_e32 v0, 1, v88
	v_pk_add_f32 v[18:19], v[2:3], v[10:11] neg_lo:[0,1] neg_hi:[0,1]
	v_lshlrev_b32_e32 v1, 3, v0
	v_pk_fma_f32 v[16:17], v[2:3], 2.0, v[18:19] op_sel_hi:[1,0,1] neg_lo:[0,0,1] neg_hi:[0,0,1]
	v_pk_fma_f32 v[4:5], v[4:5], 2.0, v[6:7] op_sel_hi:[1,0,1] neg_lo:[0,0,1] neg_hi:[0,0,1]
	ds_write_b128 v31, v[12:15]
	ds_write_b128 v31, v[16:19] offset:3584
	ds_write_b128 v20, v[4:7] offset:7168
	s_waitcnt lgkmcnt(0)
	s_barrier
	global_load_dwordx2 v[44:45], v1, s[10:11]
	v_and_or_b32 v1, v22, s2, v0
	v_lshlrev_b32_e32 v89, 3, v1
	v_and_or_b32 v1, v24, s3, v0
	v_and_or_b32 v0, v55, s12, v0
	v_lshlrev_b32_e32 v90, 3, v1
	v_lshlrev_b32_e32 v91, 3, v0
	ds_read2_b64 v[0:3], v9 offset1:224
	ds_read2_b64 v[4:7], v8 offset1:224
	;; [unrolled: 1-line block ×3, first 2 shown]
	s_waitcnt lgkmcnt(0)
	s_barrier
	s_movk_i32 s2, 0x1f8
	s_movk_i32 s3, 0x3f8
	;; [unrolled: 1-line block ×3, first 2 shown]
	s_waitcnt vmcnt(0)
	v_pk_mul_f32 v[14:15], v[6:7], v[44:45] op_sel:[0,1]
	v_pk_mul_f32 v[16:17], v[4:5], v[44:45] op_sel:[0,1]
	;; [unrolled: 1-line block ×3, first 2 shown]
	v_pk_fma_f32 v[20:21], v[6:7], v[44:45], v[14:15] op_sel:[0,0,1] op_sel_hi:[1,1,0] neg_lo:[0,0,1] neg_hi:[0,0,1]
	v_pk_fma_f32 v[6:7], v[6:7], v[44:45], v[14:15] op_sel:[0,0,1] op_sel_hi:[1,0,0]
	v_pk_fma_f32 v[14:15], v[4:5], v[44:45], v[16:17] op_sel:[0,0,1] op_sel_hi:[1,1,0] neg_lo:[0,0,1] neg_hi:[0,0,1]
	v_pk_fma_f32 v[4:5], v[4:5], v[44:45], v[16:17] op_sel:[0,0,1] op_sel_hi:[1,0,0]
	;; [unrolled: 2-line block ×3, first 2 shown]
	v_mov_b32_e32 v21, v7
	v_mov_b32_e32 v17, v3
	;; [unrolled: 1-line block ×3, first 2 shown]
	v_pk_add_f32 v[6:7], v[10:11], v[16:17] neg_lo:[0,1] neg_hi:[0,1]
	v_pk_add_f32 v[2:3], v[0:1], v[20:21] neg_lo:[0,1] neg_hi:[0,1]
	;; [unrolled: 1-line block ×3, first 2 shown]
	v_pk_fma_f32 v[10:11], v[10:11], 2.0, v[6:7] op_sel_hi:[1,0,1] neg_lo:[0,0,1] neg_hi:[0,0,1]
	v_pk_fma_f32 v[0:1], v[0:1], 2.0, v[2:3] op_sel_hi:[1,0,1] neg_lo:[0,0,1] neg_hi:[0,0,1]
	;; [unrolled: 1-line block ×3, first 2 shown]
	ds_write2_b64 v89, v[10:11], v[6:7] offset1:2
	ds_write2_b64 v90, v[12:13], v[4:5] offset1:2
	;; [unrolled: 1-line block ×3, first 2 shown]
	s_waitcnt lgkmcnt(0)
	s_barrier
	global_load_dwordx2 v[46:47], v25, s[10:11] offset:16
	v_and_or_b32 v0, v22, s2, v23
	v_lshlrev_b32_e32 v92, 3, v0
	v_and_or_b32 v0, v24, s3, v23
	v_and_or_b32 v1, v55, s12, v23
	v_lshlrev_b32_e32 v93, 3, v0
	v_lshlrev_b32_e32 v94, 3, v1
	ds_read2_b64 v[0:3], v9 offset1:224
	ds_read2_b64 v[4:7], v8 offset1:224
	;; [unrolled: 1-line block ×3, first 2 shown]
	v_and_b32_e32 v25, 7, v88
	v_lshlrev_b32_e32 v26, 3, v25
	s_waitcnt lgkmcnt(0)
	s_barrier
	s_movk_i32 s2, 0x1f0
	s_movk_i32 s3, 0x3f0
	;; [unrolled: 1-line block ×3, first 2 shown]
	v_and_b32_e32 v23, 15, v88
	s_waitcnt vmcnt(0)
	v_pk_mul_f32 v[14:15], v[6:7], v[46:47] op_sel:[0,1]
	v_pk_mul_f32 v[16:17], v[4:5], v[46:47] op_sel:[0,1]
	;; [unrolled: 1-line block ×3, first 2 shown]
	v_pk_fma_f32 v[20:21], v[6:7], v[46:47], v[14:15] op_sel:[0,0,1] op_sel_hi:[1,1,0] neg_lo:[0,0,1] neg_hi:[0,0,1]
	v_pk_fma_f32 v[6:7], v[6:7], v[46:47], v[14:15] op_sel:[0,0,1] op_sel_hi:[1,0,0]
	v_pk_fma_f32 v[14:15], v[4:5], v[46:47], v[16:17] op_sel:[0,0,1] op_sel_hi:[1,1,0] neg_lo:[0,0,1] neg_hi:[0,0,1]
	v_pk_fma_f32 v[4:5], v[4:5], v[46:47], v[16:17] op_sel:[0,0,1] op_sel_hi:[1,0,0]
	;; [unrolled: 2-line block ×3, first 2 shown]
	v_mov_b32_e32 v21, v7
	v_mov_b32_e32 v17, v3
	;; [unrolled: 1-line block ×3, first 2 shown]
	v_pk_add_f32 v[6:7], v[10:11], v[16:17] neg_lo:[0,1] neg_hi:[0,1]
	v_pk_add_f32 v[2:3], v[0:1], v[20:21] neg_lo:[0,1] neg_hi:[0,1]
	;; [unrolled: 1-line block ×3, first 2 shown]
	v_pk_fma_f32 v[10:11], v[10:11], 2.0, v[6:7] op_sel_hi:[1,0,1] neg_lo:[0,0,1] neg_hi:[0,0,1]
	v_pk_fma_f32 v[0:1], v[0:1], 2.0, v[2:3] op_sel_hi:[1,0,1] neg_lo:[0,0,1] neg_hi:[0,0,1]
	;; [unrolled: 1-line block ×3, first 2 shown]
	ds_write2_b64 v92, v[10:11], v[6:7] offset1:4
	ds_write2_b64 v93, v[12:13], v[4:5] offset1:4
	ds_write2_b64 v94, v[0:1], v[2:3] offset1:4
	s_waitcnt lgkmcnt(0)
	s_barrier
	global_load_dwordx2 v[48:49], v26, s[10:11] offset:48
	v_and_or_b32 v0, v22, s2, v25
	v_lshlrev_b32_e32 v95, 3, v0
	v_and_or_b32 v0, v24, s3, v25
	v_and_or_b32 v1, v55, s12, v25
	v_lshlrev_b32_e32 v96, 3, v0
	v_lshlrev_b32_e32 v97, 3, v1
	ds_read2_b64 v[0:3], v9 offset1:224
	ds_read2_b64 v[4:7], v8 offset1:224
	;; [unrolled: 1-line block ×3, first 2 shown]
	v_lshlrev_b32_e32 v26, 3, v23
	s_waitcnt lgkmcnt(0)
	s_barrier
	s_movk_i32 s2, 0x1e0
	s_movk_i32 s3, 0x3e0
	;; [unrolled: 1-line block ×3, first 2 shown]
	v_and_b32_e32 v25, 31, v88
	s_waitcnt vmcnt(0)
	v_pk_mul_f32 v[14:15], v[6:7], v[48:49] op_sel:[0,1]
	v_pk_mul_f32 v[16:17], v[4:5], v[48:49] op_sel:[0,1]
	;; [unrolled: 1-line block ×3, first 2 shown]
	v_pk_fma_f32 v[20:21], v[6:7], v[48:49], v[14:15] op_sel:[0,0,1] op_sel_hi:[1,1,0] neg_lo:[0,0,1] neg_hi:[0,0,1]
	v_pk_fma_f32 v[6:7], v[6:7], v[48:49], v[14:15] op_sel:[0,0,1] op_sel_hi:[1,0,0]
	v_pk_fma_f32 v[14:15], v[4:5], v[48:49], v[16:17] op_sel:[0,0,1] op_sel_hi:[1,1,0] neg_lo:[0,0,1] neg_hi:[0,0,1]
	v_pk_fma_f32 v[4:5], v[4:5], v[48:49], v[16:17] op_sel:[0,0,1] op_sel_hi:[1,0,0]
	;; [unrolled: 2-line block ×3, first 2 shown]
	v_mov_b32_e32 v21, v7
	v_mov_b32_e32 v17, v3
	;; [unrolled: 1-line block ×3, first 2 shown]
	v_pk_add_f32 v[6:7], v[10:11], v[16:17] neg_lo:[0,1] neg_hi:[0,1]
	v_pk_add_f32 v[2:3], v[0:1], v[20:21] neg_lo:[0,1] neg_hi:[0,1]
	;; [unrolled: 1-line block ×3, first 2 shown]
	v_pk_fma_f32 v[10:11], v[10:11], 2.0, v[6:7] op_sel_hi:[1,0,1] neg_lo:[0,0,1] neg_hi:[0,0,1]
	v_pk_fma_f32 v[0:1], v[0:1], 2.0, v[2:3] op_sel_hi:[1,0,1] neg_lo:[0,0,1] neg_hi:[0,0,1]
	;; [unrolled: 1-line block ×3, first 2 shown]
	ds_write2_b64 v95, v[10:11], v[6:7] offset1:8
	ds_write2_b64 v96, v[12:13], v[4:5] offset1:8
	;; [unrolled: 1-line block ×3, first 2 shown]
	s_waitcnt lgkmcnt(0)
	s_barrier
	global_load_dwordx2 v[50:51], v26, s[10:11] offset:112
	v_and_or_b32 v0, v22, s2, v23
	v_lshlrev_b32_e32 v98, 3, v0
	v_and_or_b32 v0, v24, s3, v23
	v_and_or_b32 v1, v55, s12, v23
	v_lshlrev_b32_e32 v99, 3, v0
	v_lshlrev_b32_e32 v100, 3, v1
	ds_read2_b64 v[0:3], v9 offset1:224
	ds_read2_b64 v[4:7], v8 offset1:224
	ds_read2_b64 v[10:13], v28 offset1:224
	v_lshlrev_b32_e32 v26, 3, v25
	s_waitcnt lgkmcnt(0)
	s_barrier
	s_movk_i32 s2, 0x1c0
	s_movk_i32 s3, 0x3c0
	s_movk_i32 s12, 0x7c0
	v_lshlrev_b32_e32 v23, 4, v27
	s_waitcnt vmcnt(0)
	v_pk_mul_f32 v[14:15], v[6:7], v[50:51] op_sel:[0,1]
	v_pk_mul_f32 v[16:17], v[4:5], v[50:51] op_sel:[0,1]
	;; [unrolled: 1-line block ×3, first 2 shown]
	v_pk_fma_f32 v[20:21], v[6:7], v[50:51], v[14:15] op_sel:[0,0,1] op_sel_hi:[1,1,0] neg_lo:[0,0,1] neg_hi:[0,0,1]
	v_pk_fma_f32 v[6:7], v[6:7], v[50:51], v[14:15] op_sel:[0,0,1] op_sel_hi:[1,0,0]
	v_pk_fma_f32 v[14:15], v[4:5], v[50:51], v[16:17] op_sel:[0,0,1] op_sel_hi:[1,1,0] neg_lo:[0,0,1] neg_hi:[0,0,1]
	v_pk_fma_f32 v[4:5], v[4:5], v[50:51], v[16:17] op_sel:[0,0,1] op_sel_hi:[1,0,0]
	;; [unrolled: 2-line block ×3, first 2 shown]
	v_mov_b32_e32 v21, v7
	v_mov_b32_e32 v17, v3
	;; [unrolled: 1-line block ×3, first 2 shown]
	v_pk_add_f32 v[6:7], v[10:11], v[16:17] neg_lo:[0,1] neg_hi:[0,1]
	v_pk_add_f32 v[2:3], v[0:1], v[20:21] neg_lo:[0,1] neg_hi:[0,1]
	;; [unrolled: 1-line block ×3, first 2 shown]
	v_pk_fma_f32 v[10:11], v[10:11], 2.0, v[6:7] op_sel_hi:[1,0,1] neg_lo:[0,0,1] neg_hi:[0,0,1]
	v_pk_fma_f32 v[0:1], v[0:1], 2.0, v[2:3] op_sel_hi:[1,0,1] neg_lo:[0,0,1] neg_hi:[0,0,1]
	;; [unrolled: 1-line block ×3, first 2 shown]
	ds_write2_b64 v98, v[10:11], v[6:7] offset1:16
	ds_write2_b64 v99, v[12:13], v[4:5] offset1:16
	ds_write2_b64 v100, v[0:1], v[2:3] offset1:16
	s_waitcnt lgkmcnt(0)
	s_barrier
	global_load_dwordx2 v[52:53], v26, s[10:11] offset:240
	v_and_or_b32 v0, v22, s2, v25
	v_lshlrev_b32_e32 v101, 3, v0
	v_and_or_b32 v0, v24, s3, v25
	v_and_or_b32 v1, v55, s12, v25
	v_lshlrev_b32_e32 v102, 3, v0
	v_lshlrev_b32_e32 v103, 3, v1
	ds_read2_b64 v[0:3], v8 offset1:224
	ds_read2_b64 v[4:7], v9 offset1:224
	ds_read2_b64 v[10:13], v28 offset1:224
	v_and_b32_e32 v26, 63, v88
	v_lshlrev_b32_e32 v22, 4, v26
	s_waitcnt lgkmcnt(0)
	s_barrier
	s_mov_b32 s2, 0x3f5db3d7
	s_load_dwordx2 s[12:13], s[0:1], 0x38
	s_movk_i32 s3, 0xbf
	s_movk_i32 s0, 0xc0
	v_cmp_gt_u16_e64 s[0:1], s0, v88
	s_waitcnt vmcnt(0)
	v_pk_mul_f32 v[14:15], v[2:3], v[52:53] op_sel:[0,1]
	v_pk_mul_f32 v[16:17], v[0:1], v[52:53] op_sel:[0,1]
	v_pk_mul_f32 v[18:19], v[6:7], v[52:53] op_sel:[0,1]
	v_pk_fma_f32 v[20:21], v[2:3], v[52:53], v[14:15] op_sel:[0,0,1] op_sel_hi:[1,1,0] neg_lo:[0,0,1] neg_hi:[0,0,1]
	v_pk_fma_f32 v[2:3], v[2:3], v[52:53], v[14:15] op_sel:[0,0,1] op_sel_hi:[1,0,0]
	v_pk_fma_f32 v[14:15], v[0:1], v[52:53], v[16:17] op_sel:[0,0,1] op_sel_hi:[1,1,0] neg_lo:[0,0,1] neg_hi:[0,0,1]
	v_pk_fma_f32 v[0:1], v[0:1], v[52:53], v[16:17] op_sel:[0,0,1] op_sel_hi:[1,0,0]
	;; [unrolled: 2-line block ×3, first 2 shown]
	v_mov_b32_e32 v21, v3
	v_mov_b32_e32 v17, v7
	;; [unrolled: 1-line block ×3, first 2 shown]
	v_pk_add_f32 v[0:1], v[4:5], v[20:21] neg_lo:[0,1] neg_hi:[0,1]
	v_pk_add_f32 v[6:7], v[10:11], v[16:17] neg_lo:[0,1] neg_hi:[0,1]
	;; [unrolled: 1-line block ×3, first 2 shown]
	v_pk_fma_f32 v[4:5], v[4:5], 2.0, v[0:1] op_sel_hi:[1,0,1] neg_lo:[0,0,1] neg_hi:[0,0,1]
	v_pk_fma_f32 v[10:11], v[10:11], 2.0, v[6:7] op_sel_hi:[1,0,1] neg_lo:[0,0,1] neg_hi:[0,0,1]
	;; [unrolled: 1-line block ×3, first 2 shown]
	ds_write2_b64 v101, v[10:11], v[6:7] offset1:32
	ds_write2_b64 v102, v[12:13], v[2:3] offset1:32
	ds_write2_b64 v103, v[4:5], v[0:1] offset1:32
	s_waitcnt lgkmcnt(0)
	s_barrier
	global_load_dwordx4 v[4:7], v22, s[10:11] offset:496
	global_load_dwordx4 v[0:3], v23, s[10:11] offset:496
	v_lshrrev_b32_e32 v10, 6, v88
	v_mul_u32_u24_e32 v10, 0xc0, v10
	v_lshrrev_b32_e32 v11, 6, v29
	v_or_b32_e32 v10, v10, v26
	v_mul_u32_u24_e32 v11, 0xc0, v11
	v_lshlrev_b32_e32 v105, 3, v10
	v_or_b32_e32 v10, v11, v27
	v_lshlrev_b32_e32 v104, 3, v10
	ds_read2_b64 v[10:13], v8 offset1:224
	ds_read2_b64 v[14:17], v28 offset1:224
	;; [unrolled: 1-line block ×3, first 2 shown]
	v_mov_b32_e32 v23, 0.5
	s_waitcnt lgkmcnt(0)
	s_barrier
	v_mov_b32_e32 v9, v15
	v_mov_b32_e32 v25, v14
	;; [unrolled: 1-line block ×3, first 2 shown]
	s_waitcnt vmcnt(1)
	v_mov_b32_e32 v54, v7
	s_waitcnt vmcnt(0)
	v_mul_f32_e32 v56, v12, v3
	v_pk_mul_f32 v[26:27], v[18:19], v[4:5] op_sel:[0,1]
	v_mul_f32_e32 v8, v12, v2
	v_mul_f32_e32 v58, v20, v1
	;; [unrolled: 1-line block ×3, first 2 shown]
	v_pk_mul_f32 v[60:61], v[10:11], v[54:55] op_sel_hi:[1,0]
	v_pk_fma_f32 v[62:63], v[18:19], v[4:5], v[26:27] op_sel:[0,0,1] op_sel_hi:[1,0,0]
	v_fmac_f32_e32 v58, v21, v0
	v_pk_fma_f32 v[18:19], v[18:19], v[4:5], v[26:27] op_sel:[0,0,1] op_sel_hi:[1,0,0] neg_lo:[0,0,1] neg_hi:[0,0,1]
	v_fma_f32 v26, v20, v0, -v12
	v_pk_fma_f32 v[20:21], v[10:11], v[6:7], v[60:61] op_sel:[0,0,1] op_sel_hi:[1,0,0]
	v_pk_fma_f32 v[10:11], v[10:11], v[6:7], v[60:61] op_sel:[0,0,1] op_sel_hi:[1,0,0] neg_lo:[0,0,1] neg_hi:[0,0,1]
	v_mov_b32_e32 v19, v63
	v_pk_add_f32 v[60:61], v[62:63], v[20:21]
	v_mov_b32_e32 v22, v3
	v_mov_b32_e32 v11, v21
	v_pk_add_f32 v[14:15], v[14:15], v[18:19]
	v_mov_b32_e32 v60, v13
	v_mov_b32_e32 v19, v10
	v_mov_b32_e32 v57, v21
	v_pk_add_f32 v[20:21], v[14:15], v[10:11]
	v_pk_fma_f32 v[10:11], v[60:61], v[22:23], v[8:9] neg_lo:[1,0,0] neg_hi:[1,0,0]
	v_fmac_f32_e32 v56, v13, v2
	v_mov_b32_e32 v27, v18
	v_mov_b32_e32 v59, v63
	;; [unrolled: 1-line block ×3, first 2 shown]
	v_add_f32_e32 v7, v58, v56
	v_pk_add_f32 v[14:15], v[58:59], v[56:57] neg_lo:[0,1] neg_hi:[0,1]
	v_pk_add_f32 v[8:9], v[26:27], v[18:19]
	v_pk_add_f32 v[18:19], v[26:27], v[18:19] neg_lo:[0,1] neg_hi:[0,1]
	v_add_f32_e32 v12, v16, v26
	v_fma_f32 v62, -0.5, v7, v17
	v_pk_mul_f32 v[22:23], v[14:15], s[2:3] op_sel_hi:[1,0]
	v_mov_b32_e32 v63, v11
	v_pk_fma_f32 v[24:25], -0.5, v[8:9], v[24:25] op_sel_hi:[0,1,1]
	v_pk_mul_f32 v[26:27], v[18:19], s[2:3] op_sel_hi:[1,0]
	v_add_f32_e32 v16, v17, v58
	v_mov_b32_e32 v17, v23
	v_mov_b32_e32 v23, v62
	v_pk_fma_f32 v[66:67], v[18:19], s[2:3], v[62:63] op_sel_hi:[1,0,1]
	v_pk_fma_f32 v[8:9], v[18:19], s[2:3], v[10:11] op_sel_hi:[1,0,1] neg_lo:[1,0,0] neg_hi:[1,0,0]
	v_mov_b32_e32 v57, v25
	v_mov_b32_e32 v13, v27
	;; [unrolled: 1-line block ×4, first 2 shown]
	v_pk_fma_f32 v[58:59], v[14:15], s[2:3], v[24:25] op_sel_hi:[1,0,1]
	v_pk_fma_f32 v[26:27], v[14:15], s[2:3], v[24:25] op_sel_hi:[1,0,1] neg_lo:[1,0,0] neg_hi:[1,0,0]
	v_pk_add_f32 v[72:73], v[16:17], v[56:57]
	v_pk_add_f32 v[70:71], v[10:11], v[12:13]
	v_pk_add_f32 v[68:69], v[22:23], v[18:19] neg_lo:[0,1] neg_hi:[0,1]
	v_mov_b32_e32 v15, v67
	v_mov_b32_e32 v14, v27
	;; [unrolled: 1-line block ×5, first 2 shown]
	v_cmp_lt_u16_e64 s[2:3], s3, v88
	v_mov_b32_e32 v25, v66
	v_mov_b32_e32 v24, v26
	ds_write_b64 v105, v[14:15] offset:1024
	ds_write2st64_b64 v105, v[20:21], v[8:9] offset1:1
	ds_write_b64 v104, v[24:25] offset:1024
	ds_write2st64_b64 v104, v[70:71], v[68:69] offset1:1
	s_waitcnt lgkmcnt(0)
	s_barrier
	s_and_saveexec_b64 s[14:15], s[2:3]
	s_xor_b64 s[14:15], exec, s[14:15]
; %bb.2:
	v_mov_b32_e32 v71, v9
	v_mov_b32_e32 v74, v69
; %bb.3:
	s_andn2_saveexec_b64 s[14:15], s[14:15]
	s_cbranch_execz .LBB0_5
; %bb.4:
	ds_read2st64_b64 v[8:11], v28 offset0:6 offset1:9
	ds_read2st64_b64 v[20:23], v28 offset1:3
	ds_read2st64_b64 v[24:27], v28 offset0:12 offset1:15
	ds_read_b64 v[12:13], v28 offset:9216
	s_waitcnt lgkmcnt(3)
	v_mov_b32_e32 v70, v10
	s_waitcnt lgkmcnt(2)
	v_mov_b32_e32 v71, v23
	v_mov_b32_e32 v72, v11
	;; [unrolled: 1-line block ×3, first 2 shown]
	s_waitcnt lgkmcnt(1)
	v_mov_b32_e32 v68, v24
	s_waitcnt lgkmcnt(0)
	v_mov_b32_e32 v69, v13
	v_mov_b32_e32 v74, v25
	;; [unrolled: 1-line block ×6, first 2 shown]
.LBB0_5:
	s_or_b64 exec, exec, s[14:15]
	v_add_u32_e32 v7, 0xffffff40, v88
	v_cndmask_b32_e64 v7, v7, v88, s[0:1]
	v_mul_hi_i32_i24_e32 v9, 48, v7
	v_mul_i32_i24_e32 v8, 48, v7
	v_lshl_add_u64 v[22:23], s[10:11], 0, v[8:9]
	global_load_dwordx4 v[16:19], v[22:23], off offset:1536
	global_load_dwordx4 v[8:11], v[22:23], off offset:1520
	;; [unrolled: 1-line block ×3, first 2 shown]
	v_mov_b32_e32 v82, v67
	v_mov_b32_e32 v83, v70
	v_lshlrev_b32_e32 v107, 4, v29
	v_mov_b32_e32 v76, v73
	v_mov_b32_e32 v81, v72
	v_mov_b32_e32 v29, v72
	v_mov_b32_e32 v78, v67
	v_mov_b32_e32 v80, v27
	v_mov_b32_e32 v84, v75
	v_mov_b32_e32 v77, v74
	s_mov_b32 s14, 0x3d64c772
	s_mov_b32 s15, 0x3f4a47b2
	s_mov_b32 s20, 0x3eae86e6
	s_mov_b32 s16, s15
	s_mov_b32 s17, s14
	s_mov_b32 s21, 0xbf08b237
	s_mov_b32 s10, 0xbf955555
	s_mov_b32 s18, s21
	s_mov_b32 s19, s20
	v_lshlrev_b32_e32 v106, 3, v55
	v_mov_b32_e32 v64, v44
	v_mov_b32_e32 v65, v44
	;; [unrolled: 1-line block ×20, first 2 shown]
	s_waitcnt vmcnt(2)
	v_mov_b32_e32 v22, v19
	v_mov_b32_e32 v23, v18
	s_waitcnt vmcnt(1)
	v_pk_mul_f32 v[18:19], v[26:27], v[10:11]
	v_mov_b32_e32 v108, v17
	s_waitcnt vmcnt(0)
	v_mov_b32_e32 v18, v13
	v_mov_b32_e32 v109, v9
	;; [unrolled: 1-line block ×6, first 2 shown]
	v_pk_mul_f32 v[114:115], v[70:71], v[8:9]
	v_mov_b32_e32 v117, v15
	v_pk_mul_f32 v[118:119], v[68:69], v[14:15]
	v_pk_mul_f32 v[72:73], v[72:73], v[108:109]
	;; [unrolled: 1-line block ×3, first 2 shown]
	v_mov_b32_e32 v110, v19
	v_pk_mul_f32 v[18:19], v[26:27], v[18:19]
	v_mov_b32_e32 v116, v22
	v_mov_b32_e32 v112, v13
	;; [unrolled: 1-line block ×8, first 2 shown]
	v_pk_fma_f32 v[124:125], v[70:71], v[86:87], v[72:73]
	v_pk_fma_f32 v[70:71], v[70:71], v[86:87], v[72:73] neg_lo:[0,0,1] neg_hi:[0,0,1]
	v_pk_mul_f32 v[74:75], v[74:75], v[116:117]
	v_pk_fma_f32 v[86:87], v[66:67], v[12:13], v[18:19]
	v_mov_b32_e32 v67, v68
	v_mov_b32_e32 v114, v12
	;; [unrolled: 1-line block ×5, first 2 shown]
	v_pk_fma_f32 v[72:73], v[76:77], v[8:9], v[108:109] neg_lo:[0,0,1] neg_hi:[0,0,1]
	v_pk_fma_f32 v[84:85], v[84:85], v[14:15], v[118:119] neg_lo:[0,0,1] neg_hi:[0,0,1]
	v_pk_mul_f32 v[66:67], v[66:67], v[112:113]
	v_pk_fma_f32 v[108:109], v[68:69], v[122:123], v[74:75]
	v_pk_fma_f32 v[74:75], v[68:69], v[122:123], v[74:75] neg_lo:[0,0,1] neg_hi:[0,0,1]
	v_pk_fma_f32 v[78:79], v[78:79], v[10:11], v[110:111]
	v_pk_fma_f32 v[80:81], v[80:81], v[120:121], v[82:83] neg_lo:[0,0,1] neg_hi:[0,0,1]
	v_pk_fma_f32 v[82:83], v[28:29], v[16:17], v[82:83] op_sel:[0,1,0] op_sel_hi:[1,0,1]
	v_mov_b32_e32 v71, v125
	v_mov_b32_e32 v69, v72
	v_pk_add_f32 v[18:19], v[72:73], v[84:85]
	v_pk_fma_f32 v[26:27], v[26:27], v[114:115], v[66:67] neg_lo:[0,0,1] neg_hi:[0,0,1]
	v_pk_fma_f32 v[72:73], v[76:77], v[22:23], v[66:67]
	v_mov_b32_e32 v75, v109
	v_mov_b32_e32 v68, v125
	v_pk_add_f32 v[110:111], v[78:79], v[86:87]
	v_mov_b32_e32 v81, v83
	v_mov_b32_e32 v27, v73
	;; [unrolled: 1-line block ×6, first 2 shown]
	v_pk_add_f32 v[76:77], v[70:71], v[74:75]
	v_mov_b32_e32 v72, v73
	v_mov_b32_e32 v73, v74
	v_mov_b32_e32 v74, v83
	v_mov_b32_e32 v75, v70
	v_pk_add_f32 v[66:67], v[68:69], v[66:67] neg_lo:[0,1] neg_hi:[0,1]
	v_pk_add_f32 v[68:69], v[78:79], v[86:87] neg_lo:[0,1] neg_hi:[0,1]
	v_pk_add_f32 v[26:27], v[80:81], v[26:27]
	v_pk_add_f32 v[78:79], v[72:73], v[74:75] neg_lo:[0,1] neg_hi:[0,1]
	v_mov_b32_e32 v70, v26
	v_mov_b32_e32 v71, v110
	;; [unrolled: 1-line block ×3, first 2 shown]
	v_pk_add_f32 v[72:73], v[76:77], v[26:27] neg_lo:[0,1] neg_hi:[0,1]
	v_mov_b32_e32 v26, v18
	v_mov_b32_e32 v77, v110
	;; [unrolled: 1-line block ×6, first 2 shown]
	v_pk_add_f32 v[80:81], v[70:71], v[18:19]
	v_pk_add_f32 v[84:85], v[26:27], v[76:77] neg_lo:[0,1] neg_hi:[0,1]
	v_pk_add_f32 v[82:83], v[78:79], v[68:69]
	v_pk_add_f32 v[74:75], v[74:75], v[86:87] neg_lo:[0,1] neg_hi:[0,1]
	v_mov_b32_e32 v86, v66
	v_mov_b32_e32 v79, v69
	v_mov_b32_e32 v77, v27
	v_pk_add_f32 v[78:79], v[86:87], v[78:79] neg_lo:[0,1] neg_hi:[0,1]
	v_pk_add_f32 v[26:27], v[76:77], v[80:81]
	v_pk_mul_f32 v[78:79], v[78:79], s[20:21]
	v_pk_add_f32 v[80:81], v[20:21], v[26:27]
	v_pk_mul_f32 v[20:21], v[84:85], s[16:17]
	v_pk_add_f32 v[82:83], v[82:83], v[66:67]
	s_mov_b32 s16, 0x3ee1c552
	v_pk_fma_f32 v[76:77], v[26:27], s[10:11], v[80:81] op_sel_hi:[1,0,1]
	v_pk_fma_f32 v[26:27], v[72:73], s[14:15], v[20:21]
	v_pk_fma_f32 v[84:85], v[74:75], s[18:19], v[78:79]
	v_pk_add_f32 v[26:27], v[26:27], v[76:77]
	v_pk_fma_f32 v[86:87], v[82:83], s[16:17], v[84:85] op_sel_hi:[1,0,1]
	s_nop 0
	v_pk_add_f32 v[84:85], v[26:27], v[86:87]
	v_pk_add_f32 v[86:87], v[26:27], v[86:87] neg_lo:[0,1] neg_hi:[0,1]
	v_mov_b32_e32 v27, v85
	v_mov_b32_e32 v26, v86
	s_and_saveexec_b64 s[10:11], s[0:1]
	s_cbranch_execz .LBB0_7
; %bb.6:
	v_pk_mul_f32 v[72:73], v[72:73], s[14:15]
	v_pk_mul_f32 v[74:75], v[74:75], s[18:19]
	v_mov_b32_e32 v85, v87
	v_pk_mul_f32 v[82:83], v[82:83], s[16:17] op_sel_hi:[1,0]
	ds_write2st64_b64 v28, v[80:81], v[84:85] offset1:3
	v_mov_b32_e32 v80, v20
	v_mov_b32_e32 v81, v73
	v_pk_add_f32 v[18:19], v[70:71], v[18:19] neg_lo:[0,1] neg_hi:[0,1]
	s_mov_b32 s14, 0x3f3bfb3b
	v_pk_add_f32 v[66:67], v[68:69], v[66:67] neg_lo:[0,1] neg_hi:[0,1]
	s_mov_b32 s16, 0x3f5ff5aa
	v_mov_b32_e32 v68, v78
	v_mov_b32_e32 v69, v75
	v_mov_b32_e32 v75, v79
	v_mov_b32_e32 v73, v21
	v_pk_fma_f32 v[70:71], v[18:19], s[14:15], v[80:81] op_sel_hi:[1,0,1] neg_lo:[1,0,1] neg_hi:[1,0,1]
	v_pk_fma_f32 v[68:69], v[66:67], s[16:17], v[68:69] op_sel_hi:[1,0,1] neg_lo:[1,0,1] neg_hi:[1,0,1]
	;; [unrolled: 1-line block ×4, first 2 shown]
	v_pk_add_f32 v[70:71], v[70:71], v[76:77]
	v_pk_add_f32 v[68:69], v[82:83], v[68:69]
	;; [unrolled: 1-line block ×5, first 2 shown]
	v_pk_add_f32 v[68:69], v[70:71], v[68:69] neg_lo:[0,1] neg_hi:[0,1]
	v_pk_add_f32 v[20:21], v[18:19], v[66:67] neg_lo:[0,1] neg_hi:[0,1]
	v_pk_add_f32 v[18:19], v[18:19], v[66:67]
	v_mov_b32_e32 v70, v80
	v_mov_b32_e32 v71, v69
	;; [unrolled: 1-line block ×6, first 2 shown]
	ds_write2st64_b64 v28, v[70:71], v[66:67] offset0:6 offset1:9
	ds_write2st64_b64 v28, v[18:19], v[68:69] offset0:12 offset1:15
	ds_write_b64 v28, v[26:27] offset:9216
.LBB0_7:
	s_or_b64 exec, exec, s[10:11]
	v_mov_b32_e32 v29, 0
	v_lshl_add_u64 v[18:19], s[8:9], 0, v[28:29]
	s_mov_b64 s[8:9], 0x2a00
	v_lshl_add_u64 v[20:21], v[18:19], 0, s[8:9]
	v_add_co_u32_e32 v66, vcc, 0x2000, v18
	s_waitcnt lgkmcnt(0)
	s_barrier
	v_addc_co_u32_e32 v67, vcc, 0, v19, vcc
	global_load_dwordx2 v[74:75], v[20:21], off offset:1792
	global_load_dwordx2 v[68:69], v[66:67], off offset:2560
	v_add_co_u32_e32 v66, vcc, 0x3000, v18
	s_movk_i32 s8, 0x4000
	s_nop 0
	v_addc_co_u32_e32 v67, vcc, 0, v19, vcc
	v_add_co_u32_e32 v18, vcc, s8, v18
	global_load_dwordx2 v[76:77], v[66:67], off offset:3840
	s_nop 0
	v_addc_co_u32_e32 v19, vcc, 0, v19, vcc
	global_load_dwordx2 v[78:79], v[18:19], off offset:1536
	global_load_dwordx2 v[80:81], v[20:21], off offset:3584
	;; [unrolled: 1-line block ×3, first 2 shown]
	ds_read2_b64 v[18:21], v28 offset1:224
	v_add_u32_e32 v29, 0xe00, v28
	v_add_u32_e32 v84, 0x1c00, v28
	v_add_u32_e32 v85, 0x1500, v28
	v_add_u32_e32 v86, 0x700, v28
	s_mov_b32 s8, 0x3f5db3d7
	s_waitcnt vmcnt(5) lgkmcnt(0)
	v_mul_f32_e32 v87, v21, v75
	s_waitcnt vmcnt(4)
	v_mul_f32_e32 v66, v19, v69
	v_mul_f32_e32 v67, v18, v69
	v_fma_f32 v66, v18, v68, -v66
	v_fmac_f32_e32 v67, v19, v68
	ds_write_b64 v28, v[66:67]
	ds_read2_b64 v[66:69], v29 offset1:224
	ds_read2_b64 v[70:73], v84 offset1:224
	v_mul_f32_e32 v19, v20, v75
	v_fma_f32 v18, v20, v74, -v87
	v_fmac_f32_e32 v19, v21, v74
	s_waitcnt vmcnt(3) lgkmcnt(1)
	v_mul_f32_e32 v20, v69, v77
	v_mul_f32_e32 v21, v68, v77
	s_waitcnt vmcnt(2) lgkmcnt(0)
	v_mul_f32_e32 v74, v71, v79
	v_mul_f32_e32 v75, v70, v79
	s_waitcnt vmcnt(1)
	v_mul_f32_e32 v87, v67, v81
	v_mul_f32_e32 v77, v66, v81
	s_waitcnt vmcnt(0)
	v_mul_f32_e32 v81, v73, v83
	v_mul_f32_e32 v79, v72, v83
	v_fma_f32 v20, v68, v76, -v20
	v_fmac_f32_e32 v21, v69, v76
	v_fma_f32 v74, v70, v78, -v74
	v_fmac_f32_e32 v75, v71, v78
	v_fma_f32 v76, v66, v80, -v87
	v_fmac_f32_e32 v77, v67, v80
	v_fma_f32 v78, v72, v82, -v81
	v_fmac_f32_e32 v79, v73, v82
	ds_write2_b64 v85, v[20:21], v[74:75] offset1:224
	ds_write2_b64 v86, v[18:19], v[76:77] offset1:224
	ds_write_b64 v28, v[78:79] offset:8960
	s_waitcnt lgkmcnt(0)
	s_barrier
	ds_read2_b64 v[18:21], v28 offset1:224
	ds_read2_b64 v[66:69], v29 offset1:224
	;; [unrolled: 1-line block ×3, first 2 shown]
	s_waitcnt lgkmcnt(0)
	s_barrier
	v_pk_add_f32 v[74:75], v[18:19], v[68:69] neg_lo:[0,1] neg_hi:[0,1]
	v_pk_add_f32 v[70:71], v[20:21], v[70:71] neg_lo:[0,1] neg_hi:[0,1]
	;; [unrolled: 1-line block ×3, first 2 shown]
	v_pk_fma_f32 v[72:73], v[18:19], 2.0, v[74:75] op_sel_hi:[1,0,1] neg_lo:[0,0,1] neg_hi:[0,0,1]
	v_pk_fma_f32 v[68:69], v[20:21], 2.0, v[70:71] op_sel_hi:[1,0,1] neg_lo:[0,0,1] neg_hi:[0,0,1]
	;; [unrolled: 1-line block ×3, first 2 shown]
	ds_write_b128 v31, v[72:75]
	ds_write_b128 v107, v[68:71]
	;; [unrolled: 1-line block ×3, first 2 shown]
	s_waitcnt lgkmcnt(0)
	s_barrier
	ds_read2_b64 v[18:21], v29 offset1:224
	ds_read2_b64 v[66:69], v84 offset1:224
	;; [unrolled: 1-line block ×3, first 2 shown]
	s_waitcnt lgkmcnt(0)
	s_barrier
	v_pk_mul_f32 v[74:75], v[44:45], v[68:69]
	v_pk_mul_f32 v[76:77], v[44:45], v[66:67]
	;; [unrolled: 1-line block ×3, first 2 shown]
	v_pk_fma_f32 v[78:79], v[64:65], v[68:69], v[74:75] op_sel:[0,0,1] op_sel_hi:[1,1,0]
	v_pk_fma_f32 v[68:69], v[64:65], v[68:69], v[74:75] op_sel:[0,0,1] op_sel_hi:[1,1,0] neg_lo:[0,0,1] neg_hi:[0,0,1]
	v_pk_fma_f32 v[74:75], v[64:65], v[66:67], v[76:77] op_sel:[0,0,1] op_sel_hi:[1,1,0]
	v_pk_fma_f32 v[66:67], v[64:65], v[66:67], v[76:77] op_sel:[0,0,1] op_sel_hi:[1,1,0] neg_lo:[0,0,1] neg_hi:[0,0,1]
	;; [unrolled: 2-line block ×3, first 2 shown]
	v_mov_b32_e32 v79, v69
	v_mov_b32_e32 v75, v67
	;; [unrolled: 1-line block ×3, first 2 shown]
	v_pk_add_f32 v[20:21], v[18:19], v[78:79] neg_lo:[0,1] neg_hi:[0,1]
	v_pk_add_f32 v[44:45], v[72:73], v[74:75] neg_lo:[0,1] neg_hi:[0,1]
	;; [unrolled: 1-line block ×3, first 2 shown]
	v_pk_fma_f32 v[18:19], v[18:19], 2.0, v[20:21] op_sel_hi:[1,0,1] neg_lo:[0,0,1] neg_hi:[0,0,1]
	v_pk_fma_f32 v[66:67], v[72:73], 2.0, v[44:45] op_sel_hi:[1,0,1] neg_lo:[0,0,1] neg_hi:[0,0,1]
	;; [unrolled: 1-line block ×3, first 2 shown]
	ds_write2_b64 v89, v[68:69], v[64:65] offset1:2
	ds_write2_b64 v90, v[66:67], v[44:45] offset1:2
	;; [unrolled: 1-line block ×3, first 2 shown]
	s_waitcnt lgkmcnt(0)
	s_barrier
	ds_read2_b64 v[18:21], v84 offset1:224
	ds_read2_b64 v[64:67], v29 offset1:224
	s_waitcnt lgkmcnt(1)
	v_pk_mul_f32 v[44:45], v[46:47], v[20:21]
	s_nop 0
	v_pk_fma_f32 v[68:69], v[60:61], v[20:21], v[44:45] op_sel:[0,0,1] op_sel_hi:[1,1,0]
	v_pk_fma_f32 v[20:21], v[60:61], v[20:21], v[44:45] op_sel:[0,0,1] op_sel_hi:[1,1,0] neg_lo:[0,0,1] neg_hi:[0,0,1]
	s_nop 0
	v_mov_b32_e32 v69, v21
	s_waitcnt lgkmcnt(0)
	v_pk_add_f32 v[20:21], v[64:65], v[68:69] neg_lo:[0,1] neg_hi:[0,1]
	ds_read2_b64 v[68:71], v28 offset1:224
	v_pk_fma_f32 v[44:45], v[64:65], 2.0, v[20:21] op_sel_hi:[1,0,1] neg_lo:[0,0,1] neg_hi:[0,0,1]
	v_pk_mul_f32 v[64:65], v[46:47], v[18:19]
	v_pk_mul_f32 v[46:47], v[46:47], v[66:67]
	v_pk_fma_f32 v[72:73], v[60:61], v[18:19], v[64:65] op_sel:[0,0,1] op_sel_hi:[1,1,0]
	v_pk_fma_f32 v[18:19], v[60:61], v[18:19], v[64:65] op_sel:[0,0,1] op_sel_hi:[1,1,0] neg_lo:[0,0,1] neg_hi:[0,0,1]
	s_waitcnt lgkmcnt(0)
	v_mov_b32_e32 v73, v19
	v_pk_add_f32 v[18:19], v[70:71], v[72:73] neg_lo:[0,1] neg_hi:[0,1]
	s_barrier
	v_pk_fma_f32 v[64:65], v[70:71], 2.0, v[18:19] op_sel_hi:[1,0,1] neg_lo:[0,0,1] neg_hi:[0,0,1]
	v_pk_fma_f32 v[70:71], v[60:61], v[66:67], v[46:47] op_sel:[0,0,1] op_sel_hi:[1,1,0]
	v_pk_fma_f32 v[46:47], v[60:61], v[66:67], v[46:47] op_sel:[0,0,1] op_sel_hi:[1,1,0] neg_lo:[0,0,1] neg_hi:[0,0,1]
	s_nop 0
	v_mov_b32_e32 v71, v47
	v_pk_add_f32 v[46:47], v[68:69], v[70:71] neg_lo:[0,1] neg_hi:[0,1]
	s_nop 0
	v_pk_fma_f32 v[60:61], v[68:69], 2.0, v[46:47] op_sel_hi:[1,0,1] neg_lo:[0,0,1] neg_hi:[0,0,1]
	ds_write2_b64 v92, v[60:61], v[46:47] offset1:4
	ds_write2_b64 v93, v[64:65], v[18:19] offset1:4
	;; [unrolled: 1-line block ×3, first 2 shown]
	s_waitcnt lgkmcnt(0)
	s_barrier
	ds_read2_b64 v[18:21], v84 offset1:224
	ds_read2_b64 v[44:47], v29 offset1:224
	s_waitcnt lgkmcnt(1)
	v_pk_mul_f32 v[60:61], v[48:49], v[20:21]
	s_nop 0
	v_pk_fma_f32 v[64:65], v[56:57], v[20:21], v[60:61] op_sel:[0,0,1] op_sel_hi:[1,1,0]
	v_pk_fma_f32 v[20:21], v[56:57], v[20:21], v[60:61] op_sel:[0,0,1] op_sel_hi:[1,1,0] neg_lo:[0,0,1] neg_hi:[0,0,1]
	v_pk_mul_f32 v[60:61], v[48:49], v[18:19]
	v_mov_b32_e32 v65, v21
	s_waitcnt lgkmcnt(0)
	v_pk_add_f32 v[20:21], v[44:45], v[64:65] neg_lo:[0,1] neg_hi:[0,1]
	ds_read2_b64 v[64:67], v28 offset1:224
	v_pk_fma_f32 v[68:69], v[56:57], v[18:19], v[60:61] op_sel:[0,0,1] op_sel_hi:[1,1,0]
	v_pk_fma_f32 v[18:19], v[56:57], v[18:19], v[60:61] op_sel:[0,0,1] op_sel_hi:[1,1,0] neg_lo:[0,0,1] neg_hi:[0,0,1]
	v_pk_mul_f32 v[48:49], v[48:49], v[46:47]
	v_mov_b32_e32 v69, v19
	s_waitcnt lgkmcnt(0)
	v_pk_add_f32 v[18:19], v[66:67], v[68:69] neg_lo:[0,1] neg_hi:[0,1]
	v_pk_fma_f32 v[44:45], v[44:45], 2.0, v[20:21] op_sel_hi:[1,0,1] neg_lo:[0,0,1] neg_hi:[0,0,1]
	v_pk_fma_f32 v[60:61], v[66:67], 2.0, v[18:19] op_sel_hi:[1,0,1] neg_lo:[0,0,1] neg_hi:[0,0,1]
	v_pk_fma_f32 v[66:67], v[56:57], v[46:47], v[48:49] op_sel:[0,0,1] op_sel_hi:[1,1,0]
	v_pk_fma_f32 v[46:47], v[56:57], v[46:47], v[48:49] op_sel:[0,0,1] op_sel_hi:[1,1,0] neg_lo:[0,0,1] neg_hi:[0,0,1]
	s_nop 0
	v_mov_b32_e32 v67, v47
	v_pk_add_f32 v[46:47], v[64:65], v[66:67] neg_lo:[0,1] neg_hi:[0,1]
	s_barrier
	v_pk_fma_f32 v[48:49], v[64:65], 2.0, v[46:47] op_sel_hi:[1,0,1] neg_lo:[0,0,1] neg_hi:[0,0,1]
	ds_write2_b64 v95, v[48:49], v[46:47] offset1:8
	ds_write2_b64 v96, v[60:61], v[18:19] offset1:8
	;; [unrolled: 1-line block ×3, first 2 shown]
	s_waitcnt lgkmcnt(0)
	s_barrier
	ds_read2_b64 v[18:21], v84 offset1:224
	ds_read2_b64 v[44:47], v29 offset1:224
	ds_read2_b64 v[64:67], v28 offset1:224
	s_waitcnt lgkmcnt(0)
	s_barrier
	v_pk_mul_f32 v[48:49], v[50:51], v[20:21]
	s_nop 0
	v_pk_fma_f32 v[56:57], v[24:25], v[20:21], v[48:49] op_sel:[0,0,1] op_sel_hi:[1,1,0]
	v_pk_fma_f32 v[20:21], v[24:25], v[20:21], v[48:49] op_sel:[0,0,1] op_sel_hi:[1,1,0] neg_lo:[0,0,1] neg_hi:[0,0,1]
	v_pk_mul_f32 v[48:49], v[50:51], v[18:19]
	v_mov_b32_e32 v57, v21
	v_pk_add_f32 v[20:21], v[44:45], v[56:57] neg_lo:[0,1] neg_hi:[0,1]
	v_pk_fma_f32 v[56:57], v[24:25], v[18:19], v[48:49] op_sel:[0,0,1] op_sel_hi:[1,1,0]
	v_pk_fma_f32 v[18:19], v[24:25], v[18:19], v[48:49] op_sel:[0,0,1] op_sel_hi:[1,1,0] neg_lo:[0,0,1] neg_hi:[0,0,1]
	v_pk_mul_f32 v[50:51], v[50:51], v[46:47]
	v_mov_b32_e32 v57, v19
	v_pk_add_f32 v[18:19], v[66:67], v[56:57] neg_lo:[0,1] neg_hi:[0,1]
	v_pk_fma_f32 v[56:57], v[24:25], v[46:47], v[50:51] op_sel:[0,0,1] op_sel_hi:[1,1,0]
	v_pk_fma_f32 v[24:25], v[24:25], v[46:47], v[50:51] op_sel:[0,0,1] op_sel_hi:[1,1,0] neg_lo:[0,0,1] neg_hi:[0,0,1]
	v_pk_fma_f32 v[44:45], v[44:45], 2.0, v[20:21] op_sel_hi:[1,0,1] neg_lo:[0,0,1] neg_hi:[0,0,1]
	v_mov_b32_e32 v57, v25
	v_pk_add_f32 v[24:25], v[64:65], v[56:57] neg_lo:[0,1] neg_hi:[0,1]
	v_pk_fma_f32 v[48:49], v[66:67], 2.0, v[18:19] op_sel_hi:[1,0,1] neg_lo:[0,0,1] neg_hi:[0,0,1]
	v_pk_fma_f32 v[46:47], v[64:65], 2.0, v[24:25] op_sel_hi:[1,0,1] neg_lo:[0,0,1] neg_hi:[0,0,1]
	ds_write2_b64 v98, v[46:47], v[24:25] offset1:16
	ds_write2_b64 v99, v[48:49], v[18:19] offset1:16
	;; [unrolled: 1-line block ×3, first 2 shown]
	s_waitcnt lgkmcnt(0)
	s_barrier
	ds_read2_b64 v[18:21], v84 offset1:224
	ds_read2_b64 v[44:47], v29 offset1:224
	s_waitcnt lgkmcnt(1)
	v_pk_mul_f32 v[24:25], v[52:53], v[20:21]
	s_nop 0
	v_pk_fma_f32 v[48:49], v[62:63], v[20:21], v[24:25] op_sel:[0,0,1] op_sel_hi:[1,1,0]
	v_pk_fma_f32 v[20:21], v[62:63], v[20:21], v[24:25] op_sel:[0,0,1] op_sel_hi:[1,1,0] neg_lo:[0,0,1] neg_hi:[0,0,1]
	s_nop 0
	v_mov_b32_e32 v49, v21
	s_waitcnt lgkmcnt(0)
	v_pk_add_f32 v[20:21], v[44:45], v[48:49] neg_lo:[0,1] neg_hi:[0,1]
	ds_read2_b64 v[48:51], v28 offset1:224
	v_pk_fma_f32 v[24:25], v[44:45], 2.0, v[20:21] op_sel_hi:[1,0,1] neg_lo:[0,0,1] neg_hi:[0,0,1]
	v_pk_mul_f32 v[44:45], v[52:53], v[18:19]
	s_waitcnt lgkmcnt(0)
	v_pk_fma_f32 v[56:57], v[62:63], v[18:19], v[44:45] op_sel:[0,0,1] op_sel_hi:[1,1,0]
	v_pk_fma_f32 v[18:19], v[62:63], v[18:19], v[44:45] op_sel:[0,0,1] op_sel_hi:[1,1,0] neg_lo:[0,0,1] neg_hi:[0,0,1]
	s_barrier
	v_mov_b32_e32 v57, v19
	v_pk_add_f32 v[18:19], v[50:51], v[56:57] neg_lo:[0,1] neg_hi:[0,1]
	s_nop 0
	v_pk_fma_f32 v[44:45], v[50:51], 2.0, v[18:19] op_sel_hi:[1,0,1] neg_lo:[0,0,1] neg_hi:[0,0,1]
	v_pk_mul_f32 v[50:51], v[52:53], v[46:47]
	s_nop 0
	v_pk_fma_f32 v[52:53], v[62:63], v[46:47], v[50:51] op_sel:[0,0,1] op_sel_hi:[1,1,0]
	v_pk_fma_f32 v[46:47], v[62:63], v[46:47], v[50:51] op_sel:[0,0,1] op_sel_hi:[1,1,0] neg_lo:[0,0,1] neg_hi:[0,0,1]
	s_nop 0
	v_mov_b32_e32 v53, v47
	v_pk_add_f32 v[46:47], v[48:49], v[52:53] neg_lo:[0,1] neg_hi:[0,1]
	s_nop 0
	v_pk_fma_f32 v[48:49], v[48:49], 2.0, v[46:47] op_sel_hi:[1,0,1] neg_lo:[0,0,1] neg_hi:[0,0,1]
	ds_write2_b64 v101, v[48:49], v[46:47] offset1:32
	ds_write2_b64 v102, v[44:45], v[18:19] offset1:32
	;; [unrolled: 1-line block ×3, first 2 shown]
	s_waitcnt lgkmcnt(0)
	s_barrier
	ds_read2_b64 v[18:21], v29 offset1:224
	ds_read2_b64 v[44:47], v84 offset1:224
	;; [unrolled: 1-line block ×3, first 2 shown]
	s_waitcnt lgkmcnt(0)
	s_barrier
	v_pk_mul_f32 v[4:5], v[4:5], v[18:19]
	s_nop 0
	v_pk_fma_f32 v[24:25], v[58:59], v[18:19], v[4:5] op_sel:[0,0,1] op_sel_hi:[1,1,0]
	v_pk_fma_f32 v[4:5], v[58:59], v[18:19], v[4:5] op_sel:[0,0,1] op_sel_hi:[1,1,0] neg_lo:[0,0,1] neg_hi:[0,0,1]
	s_nop 0
	v_mov_b32_e32 v25, v5
	v_pk_mul_f32 v[4:5], v[54:55], v[44:45]
	s_nop 0
	v_pk_fma_f32 v[52:53], v[6:7], v[44:45], v[4:5] op_sel:[0,0,1] op_sel_hi:[1,1,0]
	v_pk_fma_f32 v[4:5], v[6:7], v[44:45], v[4:5] op_sel:[0,0,1] op_sel_hi:[1,1,0] neg_lo:[0,0,1] neg_hi:[0,0,1]
	v_pk_mul_f32 v[6:7], v[0:1], v[20:21] op_sel:[0,1]
	v_mov_b32_e32 v53, v5
	v_pk_fma_f32 v[18:19], v[0:1], v[20:21], v[6:7] op_sel:[0,0,1] op_sel_hi:[1,0,0] neg_lo:[1,0,0] neg_hi:[1,0,0]
	v_pk_fma_f32 v[0:1], v[0:1], v[20:21], v[6:7] op_sel:[0,0,1] op_sel_hi:[1,0,0]
	v_pk_mul_f32 v[6:7], v[2:3], v[46:47] op_sel:[0,1]
	v_mov_b32_e32 v1, v19
	v_pk_fma_f32 v[18:19], v[2:3], v[46:47], v[6:7] op_sel:[0,0,1] op_sel_hi:[1,0,0] neg_lo:[1,0,0] neg_hi:[1,0,0]
	v_pk_fma_f32 v[2:3], v[2:3], v[46:47], v[6:7] op_sel:[0,0,1] op_sel_hi:[1,0,0]
	v_pk_add_f32 v[4:5], v[48:49], v[24:25]
	v_mov_b32_e32 v3, v19
	v_pk_add_f32 v[6:7], v[0:1], v[2:3]
	v_pk_add_f32 v[4:5], v[4:5], v[52:53]
	v_pk_fma_f32 v[44:45], v[6:7], 0.5, v[50:51] op_sel_hi:[1,0,1] neg_lo:[1,0,0] neg_hi:[1,0,0]
	v_pk_add_f32 v[6:7], v[0:1], v[2:3] neg_lo:[0,1] neg_hi:[0,1]
	v_pk_add_f32 v[0:1], v[50:51], v[0:1]
	v_pk_mul_f32 v[46:47], v[6:7], s[8:9] op_sel_hi:[1,0]
	v_pk_add_f32 v[2:3], v[0:1], v[2:3]
	v_pk_add_f32 v[0:1], v[44:45], v[46:47] op_sel:[0,1] op_sel_hi:[1,0]
	v_pk_add_f32 v[18:19], v[44:45], v[46:47] op_sel:[0,1] op_sel_hi:[1,0] neg_lo:[0,1] neg_hi:[0,1]
	v_pk_add_f32 v[6:7], v[24:25], v[52:53] neg_lo:[0,1] neg_hi:[0,1]
	v_mov_b32_e32 v19, v1
	v_pk_add_f32 v[0:1], v[24:25], v[52:53]
	v_mov_b32_e32 v24, v47
	v_pk_fma_f32 v[0:1], v[0:1], 0.5, v[48:49] op_sel_hi:[1,0,1] neg_lo:[1,0,0] neg_hi:[1,0,0]
	v_pk_mul_f32 v[48:49], v[6:7], s[8:9] op_sel_hi:[1,0]
	v_mov_b32_e32 v50, v44
	v_pk_add_f32 v[6:7], v[0:1], v[48:49] op_sel:[0,1] op_sel_hi:[1,0] neg_lo:[0,1] neg_hi:[0,1]
	v_pk_add_f32 v[20:21], v[0:1], v[48:49] op_sel:[0,1] op_sel_hi:[1,0]
	v_mov_b32_e32 v25, v49
	v_mov_b32_e32 v51, v0
	;; [unrolled: 1-line block ×4, first 2 shown]
	v_pk_add_f32 v[24:25], v[24:25], v[50:51]
	v_pk_add_f32 v[0:1], v[0:1], v[46:47] neg_lo:[0,1] neg_hi:[0,1]
	v_mov_b32_e32 v7, v21
	v_mov_b32_e32 v44, v25
	;; [unrolled: 1-line block ×3, first 2 shown]
	ds_write2st64_b64 v105, v[4:5], v[6:7] offset1:1
	ds_write_b64 v105, v[44:45] offset:1024
	ds_write2st64_b64 v104, v[2:3], v[18:19] offset1:1
	v_mov_b32_e32 v44, v24
	v_mov_b32_e32 v45, v0
	ds_write_b64 v104, v[44:45] offset:1024
	s_waitcnt lgkmcnt(0)
	s_barrier
	s_and_saveexec_b64 s[8:9], s[2:3]
	s_xor_b64 s[2:3], exec, s[8:9]
	s_andn2_saveexec_b64 s[2:3], s[2:3]
	s_cbranch_execz .LBB0_9
; %bb.8:
	ds_read2st64_b64 v[18:21], v28 offset0:12 offset1:15
	ds_read2st64_b64 v[0:3], v28 offset0:6 offset1:9
	ds_read2st64_b64 v[4:7], v28 offset1:3
	ds_read_b64 v[26:27], v28 offset:9216
	s_waitcnt lgkmcnt(3)
	v_mov_b32_e32 v24, v20
	s_waitcnt lgkmcnt(2)
	v_mov_b32_e32 v25, v0
	v_mov_b32_e32 v0, v21
	s_waitcnt lgkmcnt(1)
	v_mov_b32_e32 v21, v7
.LBB0_9:
	s_or_b64 exec, exec, s[2:3]
	s_and_saveexec_b64 s[2:3], s[0:1]
	s_cbranch_execz .LBB0_11
; %bb.10:
	v_mov_b32_e32 v46, v17
	v_mov_b32_e32 v47, v16
	v_pk_mul_f32 v[58:59], v[46:47], v[2:3]
	v_mov_b32_e32 v54, v3
	v_mov_b32_e32 v58, v59
	v_pk_mul_f32 v[16:17], v[16:17], v[2:3]
	v_pk_mul_f32 v[54:55], v[46:47], v[54:55]
	v_pk_fma_f32 v[2:3], v[46:47], v[2:3], v[58:59] neg_lo:[1,0,0] neg_hi:[1,0,0]
	v_pk_mul_f32 v[46:47], v[22:23], v[18:19]
	v_mov_b32_e32 v44, v23
	v_mov_b32_e32 v45, v22
	s_waitcnt lgkmcnt(0)
	v_pk_mul_f32 v[50:51], v[14:15], v[26:27] op_sel_hi:[1,0]
	v_mov_b32_e32 v26, v27
	v_mov_b32_e32 v52, v19
	;; [unrolled: 1-line block ×3, first 2 shown]
	v_pk_mul_f32 v[6:7], v[8:9], v[6:7] op_sel_hi:[1,0]
	v_mov_b32_e32 v20, v21
	v_mov_b32_e32 v48, v21
	v_pk_mul_f32 v[44:45], v[44:45], v[18:19]
	v_pk_mul_f32 v[52:53], v[22:23], v[52:53]
	v_pk_fma_f32 v[18:19], v[22:23], v[18:19], v[46:47] neg_lo:[1,0,0] neg_hi:[1,0,0]
	v_pk_fma_f32 v[22:23], v[14:15], v[26:27], v[50:51] op_sel:[0,0,1] op_sel_hi:[1,0,0] neg_lo:[0,0,1] neg_hi:[0,0,1]
	v_pk_fma_f32 v[14:15], v[14:15], v[26:27], v[50:51] op_sel:[0,0,1] op_sel_hi:[1,0,0]
	v_pk_mul_f32 v[56:57], v[10:11], v[24:25] op_sel:[0,1]
	v_pk_mul_f32 v[24:25], v[12:13], v[24:25] op_sel_hi:[1,0]
	v_mov_b32_e32 v23, v15
	v_pk_fma_f32 v[14:15], v[8:9], v[20:21], v[6:7] op_sel:[0,0,1] op_sel_hi:[1,1,0] neg_lo:[0,0,1] neg_hi:[0,0,1]
	v_pk_fma_f32 v[6:7], v[8:9], v[48:49], v[6:7] op_sel:[0,0,1] op_sel_hi:[1,0,0]
	v_pk_fma_f32 v[8:9], v[12:13], v[0:1], v[24:25] op_sel:[0,0,1] op_sel_hi:[1,0,0]
	v_mov_b32_e32 v15, v7
	v_pk_fma_f32 v[6:7], v[12:13], v[0:1], v[24:25] op_sel:[0,0,1] op_sel_hi:[1,1,0] neg_lo:[0,0,1] neg_hi:[0,0,1]
	v_mov_b32_e32 v45, v22
	v_mov_b32_e32 v7, v9
	v_pk_fma_f32 v[8:9], v[10:11], v[0:1], v[56:57] op_sel:[0,1,1] op_sel_hi:[1,1,0] neg_lo:[0,0,1] neg_hi:[0,0,1]
	v_pk_fma_f32 v[0:1], v[10:11], v[0:1], v[56:57] op_sel:[0,1,1] op_sel_hi:[1,1,0]
	v_mov_b32_e32 v53, v14
	v_mov_b32_e32 v9, v1
	;; [unrolled: 1-line block ×4, first 2 shown]
	v_pk_add_f32 v[0:1], v[22:23], v[14:15]
	v_pk_add_f32 v[10:11], v[6:7], v[8:9]
	v_pk_add_f32 v[12:13], v[14:15], v[22:23] neg_lo:[0,1] neg_hi:[0,1]
	v_pk_add_f32 v[20:21], v[8:9], v[6:7] neg_lo:[0,1] neg_hi:[0,1]
	v_pk_add_f32 v[14:15], v[44:45], v[52:53]
	v_pk_add_f32 v[6:7], v[16:17], v[54:55]
	v_mov_b32_e32 v19, v14
	v_mov_b32_e32 v3, v6
	v_pk_add_f32 v[8:9], v[18:19], v[2:3] neg_lo:[0,1] neg_hi:[0,1]
	s_mov_b32 s0, 0xbeae86e6
	v_mov_b32_e32 v22, v8
	s_mov_b32 s1, 0x3f08b237
	v_pk_add_f32 v[24:25], v[8:9], v[20:21]
	v_mov_b32_e32 v26, v8
	v_mov_b32_e32 v27, v13
	;; [unrolled: 1-line block ×6, first 2 shown]
	v_pk_add_f32 v[8:9], v[26:27], v[8:9] neg_lo:[0,1] neg_hi:[0,1]
	s_mov_b32 s10, s1
	s_mov_b32 s11, s0
	v_mov_b32_e32 v26, v11
	v_mov_b32_e32 v27, v2
	;; [unrolled: 1-line block ×4, first 2 shown]
	v_pk_add_f32 v[16:17], v[16:17], v[22:23] neg_lo:[0,1] neg_hi:[0,1]
	v_pk_mul_f32 v[8:9], v[8:9], s[10:11]
	v_pk_add_f32 v[2:3], v[26:27], v[2:3]
	v_pk_add_f32 v[18:19], v[6:7], v[14:15]
	v_pk_mul_f32 v[22:23], v[16:17], s[0:1]
	v_pk_fma_f32 v[16:17], v[16:17], s[0:1], v[8:9]
	v_pk_add_f32 v[26:27], v[2:3], v[18:19]
	v_mov_b32_e32 v2, v1
	v_mov_b32_e32 v19, v7
	s_mov_b32 s0, 0x3f4a47b2
	v_pk_add_f32 v[44:45], v[2:3], v[18:19] neg_lo:[0,1] neg_hi:[0,1]
	s_mov_b32 s1, 0x3d64c772
	v_mov_b32_e32 v19, v15
	v_mov_b32_e32 v2, v11
	v_pk_add_f32 v[2:3], v[18:19], v[2:3] neg_lo:[0,1] neg_hi:[0,1]
	s_mov_b32 s10, s1
	s_mov_b32 s11, s0
	v_pk_mul_f32 v[2:3], v[2:3], s[10:11]
	v_pk_add_f32 v[4:5], v[4:5], v[26:27]
	v_pk_mul_f32 v[46:47], v[44:45], s[0:1]
	v_pk_fma_f32 v[18:19], v[44:45], s[0:1], v[2:3]
	s_mov_b32 s0, 0xbf955555
	v_pk_add_f32 v[24:25], v[24:25], v[12:13]
	s_mov_b32 s8, 0xbee1c552
	v_pk_fma_f32 v[26:27], v[26:27], s[0:1], v[4:5] op_sel_hi:[1,0,1]
	v_pk_fma_f32 v[16:17], v[24:25], s[8:9], v[16:17] op_sel_hi:[1,0,1]
	v_pk_add_f32 v[18:19], v[18:19], v[26:27]
	v_mov_b32_e32 v6, v11
	v_pk_add_f32 v[44:45], v[18:19], v[16:17]
	v_pk_add_f32 v[16:17], v[18:19], v[16:17] neg_lo:[0,1] neg_hi:[0,1]
	v_mov_b32_e32 v18, v44
	v_mov_b32_e32 v19, v17
	;; [unrolled: 1-line block ×3, first 2 shown]
	ds_write2st64_b64 v28, v[4:5], v[18:19] offset1:3
	v_pk_add_f32 v[4:5], v[20:21], v[12:13] neg_lo:[0,1] neg_hi:[0,1]
	s_mov_b32 s0, 0xbf5ff5aa
	v_mov_b32_e32 v12, v22
	v_mov_b32_e32 v13, v9
	v_pk_add_f32 v[0:1], v[6:7], v[14:15] neg_lo:[0,1] neg_hi:[0,1]
	s_mov_b32 s10, 0x3f3bfb3b
	v_mov_b32_e32 v6, v46
	v_mov_b32_e32 v7, v3
	;; [unrolled: 1-line block ×4, first 2 shown]
	v_pk_fma_f32 v[12:13], v[4:5], s[0:1], v[12:13] op_sel_hi:[1,0,1] neg_lo:[1,0,1] neg_hi:[1,0,1]
	v_pk_fma_f32 v[6:7], v[0:1], s[10:11], v[6:7] op_sel_hi:[1,0,1] neg_lo:[1,0,1] neg_hi:[1,0,1]
	;; [unrolled: 1-line block ×4, first 2 shown]
	v_pk_fma_f32 v[12:13], v[24:25], s[8:9], v[12:13] op_sel_hi:[1,0,1]
	v_pk_add_f32 v[6:7], v[6:7], v[26:27]
	v_pk_fma_f32 v[4:5], v[24:25], s[8:9], v[4:5] op_sel_hi:[1,0,1]
	v_pk_add_f32 v[0:1], v[0:1], v[26:27]
	v_pk_add_f32 v[10:11], v[6:7], v[12:13]
	v_pk_add_f32 v[6:7], v[6:7], v[12:13] neg_lo:[0,1] neg_hi:[0,1]
	v_pk_add_f32 v[2:3], v[0:1], v[4:5] neg_lo:[0,1] neg_hi:[0,1]
	v_pk_add_f32 v[0:1], v[0:1], v[4:5]
	v_mov_b32_e32 v12, v10
	v_mov_b32_e32 v13, v7
	;; [unrolled: 1-line block ×7, first 2 shown]
	ds_write2st64_b64 v28, v[12:13], v[4:5] offset0:6 offset1:9
	ds_write2st64_b64 v28, v[0:1], v[6:7] offset0:12 offset1:15
	ds_write_b64 v28, v[16:17] offset:9216
.LBB0_11:
	s_or_b64 exec, exec, s[2:3]
	s_waitcnt lgkmcnt(0)
	s_barrier
	ds_read2_b64 v[0:3], v28 offset1:224
	v_mad_u64_u32 v[10:11], s[0:1], s6, v30, 0
	v_mov_b32_e32 v4, v11
	v_mad_u64_u32 v[4:5], s[0:1], s7, v30, v[4:5]
	v_mov_b32_e32 v11, v4
	s_waitcnt lgkmcnt(0)
	v_mul_f32_e32 v4, v43, v1
	v_fmac_f32_e32 v4, v42, v0
	v_mul_f32_e32 v0, v43, v0
	s_mov_b32 s0, 0x18618618
	v_fma_f32 v0, v42, v1, -v0
	s_mov_b32 s1, 0x3f486186
	v_cvt_f64_f32_e32 v[0:1], v0
	v_cvt_f64_f32_e32 v[4:5], v4
	v_mul_f64 v[0:1], v[0:1], s[0:1]
	v_mul_f64 v[4:5], v[4:5], s[0:1]
	v_cvt_f32_f64_e32 v13, v[0:1]
	v_mad_u64_u32 v[0:1], s[2:3], s4, v88, 0
	v_cvt_f32_f64_e32 v12, v[4:5]
	v_mov_b32_e32 v4, v1
	v_add_u32_e32 v1, 0xe00, v28
	v_mad_u64_u32 v[14:15], s[2:3], s5, v88, v[4:5]
	ds_read2_b64 v[4:7], v1 offset1:224
	v_mov_b32_e32 v8, s12
	v_mov_b32_e32 v9, s13
	;; [unrolled: 1-line block ×3, first 2 shown]
	v_lshl_add_u64 v[8:9], v[10:11], 3, v[8:9]
	v_lshl_add_u64 v[0:1], v[0:1], 3, v[8:9]
	s_waitcnt lgkmcnt(0)
	v_mul_f32_e32 v8, v41, v7
	v_fmac_f32_e32 v8, v40, v6
	v_mul_f32_e32 v6, v41, v6
	v_fma_f32 v6, v40, v7, -v6
	v_cvt_f64_f32_e32 v[8:9], v8
	v_cvt_f64_f32_e32 v[6:7], v6
	v_mul_f64 v[8:9], v[8:9], s[0:1]
	v_mul_f64 v[6:7], v[6:7], s[0:1]
	v_cvt_f32_f64_e32 v8, v[8:9]
	v_cvt_f32_f64_e32 v9, v[6:7]
	v_mul_f32_e32 v6, v39, v3
	v_mov_b32_e32 v10, 0x1500
	v_fmac_f32_e32 v6, v38, v2
	v_mul_f32_e32 v2, v39, v2
	global_store_dwordx2 v[0:1], v[12:13], off
	v_mad_u64_u32 v[0:1], s[2:3], s4, v10, v[0:1]
	s_mul_i32 s6, s5, 0x1500
	v_fma_f32 v2, v38, v3, -v2
	v_add_u32_e32 v1, s6, v1
	v_cvt_f64_f32_e32 v[6:7], v6
	v_cvt_f64_f32_e32 v[2:3], v2
	v_mov_b32_e32 v11, 0xfffff200
	global_store_dwordx2 v[0:1], v[8:9], off
	v_mul_f64 v[6:7], v[6:7], s[0:1]
	v_mul_f64 v[2:3], v[2:3], s[0:1]
	v_mad_u64_u32 v[8:9], s[2:3], s4, v11, v[0:1]
	v_add_u32_e32 v0, 0x1c00, v28
	v_cvt_f32_f64_e32 v6, v[6:7]
	v_cvt_f32_f64_e32 v7, v[2:3]
	ds_read2_b64 v[0:3], v0 offset1:224
	s_mul_i32 s2, s5, 0xfffff200
	s_sub_i32 s5, s2, s4
	v_add_u32_e32 v9, s5, v9
	global_store_dwordx2 v[8:9], v[6:7], off
	s_waitcnt lgkmcnt(0)
	v_mul_f32_e32 v6, v35, v1
	v_fmac_f32_e32 v6, v34, v0
	v_mul_f32_e32 v0, v35, v0
	v_fma_f32 v0, v34, v1, -v0
	v_cvt_f64_f32_e32 v[6:7], v6
	v_cvt_f64_f32_e32 v[0:1], v0
	v_mul_f64 v[6:7], v[6:7], s[0:1]
	v_mul_f64 v[0:1], v[0:1], s[0:1]
	v_cvt_f32_f64_e32 v6, v[6:7]
	v_cvt_f32_f64_e32 v7, v[0:1]
	v_mad_u64_u32 v[0:1], s[2:3], s4, v10, v[8:9]
	v_add_u32_e32 v1, s6, v1
	global_store_dwordx2 v[0:1], v[6:7], off
	v_mul_f32_e32 v6, v33, v5
	v_fmac_f32_e32 v6, v32, v4
	v_mul_f32_e32 v4, v33, v4
	v_fma_f32 v4, v32, v5, -v4
	v_cvt_f64_f32_e32 v[6:7], v6
	v_cvt_f64_f32_e32 v[4:5], v4
	v_mul_f64 v[6:7], v[6:7], s[0:1]
	v_mul_f64 v[4:5], v[4:5], s[0:1]
	v_cvt_f32_f64_e32 v6, v[6:7]
	v_cvt_f32_f64_e32 v7, v[4:5]
	v_mul_f32_e32 v4, v37, v3
	v_fmac_f32_e32 v4, v36, v2
	v_mul_f32_e32 v2, v37, v2
	v_mad_u64_u32 v[0:1], s[2:3], s4, v11, v[0:1]
	v_fma_f32 v2, v36, v3, -v2
	v_add_u32_e32 v1, s5, v1
	v_cvt_f64_f32_e32 v[4:5], v4
	v_cvt_f64_f32_e32 v[2:3], v2
	global_store_dwordx2 v[0:1], v[6:7], off
	v_mul_f64 v[4:5], v[4:5], s[0:1]
	v_mul_f64 v[2:3], v[2:3], s[0:1]
	v_mad_u64_u32 v[0:1], s[0:1], s4, v10, v[0:1]
	v_cvt_f32_f64_e32 v4, v[4:5]
	v_cvt_f32_f64_e32 v5, v[2:3]
	v_add_u32_e32 v1, s6, v1
	global_store_dwordx2 v[0:1], v[4:5], off
.LBB0_12:
	s_endpgm
	.section	.rodata,"a",@progbits
	.p2align	6, 0x0
	.amdhsa_kernel bluestein_single_fwd_len1344_dim1_sp_op_CI_CI
		.amdhsa_group_segment_fixed_size 10752
		.amdhsa_private_segment_fixed_size 0
		.amdhsa_kernarg_size 104
		.amdhsa_user_sgpr_count 2
		.amdhsa_user_sgpr_dispatch_ptr 0
		.amdhsa_user_sgpr_queue_ptr 0
		.amdhsa_user_sgpr_kernarg_segment_ptr 1
		.amdhsa_user_sgpr_dispatch_id 0
		.amdhsa_user_sgpr_kernarg_preload_length 0
		.amdhsa_user_sgpr_kernarg_preload_offset 0
		.amdhsa_user_sgpr_private_segment_size 0
		.amdhsa_uses_dynamic_stack 0
		.amdhsa_enable_private_segment 0
		.amdhsa_system_sgpr_workgroup_id_x 1
		.amdhsa_system_sgpr_workgroup_id_y 0
		.amdhsa_system_sgpr_workgroup_id_z 0
		.amdhsa_system_sgpr_workgroup_info 0
		.amdhsa_system_vgpr_workitem_id 0
		.amdhsa_next_free_vgpr 126
		.amdhsa_next_free_sgpr 22
		.amdhsa_accum_offset 128
		.amdhsa_reserve_vcc 1
		.amdhsa_float_round_mode_32 0
		.amdhsa_float_round_mode_16_64 0
		.amdhsa_float_denorm_mode_32 3
		.amdhsa_float_denorm_mode_16_64 3
		.amdhsa_dx10_clamp 1
		.amdhsa_ieee_mode 1
		.amdhsa_fp16_overflow 0
		.amdhsa_tg_split 0
		.amdhsa_exception_fp_ieee_invalid_op 0
		.amdhsa_exception_fp_denorm_src 0
		.amdhsa_exception_fp_ieee_div_zero 0
		.amdhsa_exception_fp_ieee_overflow 0
		.amdhsa_exception_fp_ieee_underflow 0
		.amdhsa_exception_fp_ieee_inexact 0
		.amdhsa_exception_int_div_zero 0
	.end_amdhsa_kernel
	.text
.Lfunc_end0:
	.size	bluestein_single_fwd_len1344_dim1_sp_op_CI_CI, .Lfunc_end0-bluestein_single_fwd_len1344_dim1_sp_op_CI_CI
                                        ; -- End function
	.section	.AMDGPU.csdata,"",@progbits
; Kernel info:
; codeLenInByte = 7268
; NumSgprs: 28
; NumVgprs: 126
; NumAgprs: 0
; TotalNumVgprs: 126
; ScratchSize: 0
; MemoryBound: 0
; FloatMode: 240
; IeeeMode: 1
; LDSByteSize: 10752 bytes/workgroup (compile time only)
; SGPRBlocks: 3
; VGPRBlocks: 15
; NumSGPRsForWavesPerEU: 28
; NumVGPRsForWavesPerEU: 126
; AccumOffset: 128
; Occupancy: 4
; WaveLimiterHint : 1
; COMPUTE_PGM_RSRC2:SCRATCH_EN: 0
; COMPUTE_PGM_RSRC2:USER_SGPR: 2
; COMPUTE_PGM_RSRC2:TRAP_HANDLER: 0
; COMPUTE_PGM_RSRC2:TGID_X_EN: 1
; COMPUTE_PGM_RSRC2:TGID_Y_EN: 0
; COMPUTE_PGM_RSRC2:TGID_Z_EN: 0
; COMPUTE_PGM_RSRC2:TIDIG_COMP_CNT: 0
; COMPUTE_PGM_RSRC3_GFX90A:ACCUM_OFFSET: 31
; COMPUTE_PGM_RSRC3_GFX90A:TG_SPLIT: 0
	.text
	.p2alignl 6, 3212836864
	.fill 256, 4, 3212836864
	.type	__hip_cuid_f1fdad5e6b0f0d21,@object ; @__hip_cuid_f1fdad5e6b0f0d21
	.section	.bss,"aw",@nobits
	.globl	__hip_cuid_f1fdad5e6b0f0d21
__hip_cuid_f1fdad5e6b0f0d21:
	.byte	0                               ; 0x0
	.size	__hip_cuid_f1fdad5e6b0f0d21, 1

	.ident	"AMD clang version 19.0.0git (https://github.com/RadeonOpenCompute/llvm-project roc-6.4.0 25133 c7fe45cf4b819c5991fe208aaa96edf142730f1d)"
	.section	".note.GNU-stack","",@progbits
	.addrsig
	.addrsig_sym __hip_cuid_f1fdad5e6b0f0d21
	.amdgpu_metadata
---
amdhsa.kernels:
  - .agpr_count:     0
    .args:
      - .actual_access:  read_only
        .address_space:  global
        .offset:         0
        .size:           8
        .value_kind:     global_buffer
      - .actual_access:  read_only
        .address_space:  global
        .offset:         8
        .size:           8
        .value_kind:     global_buffer
      - .actual_access:  read_only
        .address_space:  global
        .offset:         16
        .size:           8
        .value_kind:     global_buffer
      - .actual_access:  read_only
        .address_space:  global
        .offset:         24
        .size:           8
        .value_kind:     global_buffer
      - .actual_access:  read_only
        .address_space:  global
        .offset:         32
        .size:           8
        .value_kind:     global_buffer
      - .offset:         40
        .size:           8
        .value_kind:     by_value
      - .address_space:  global
        .offset:         48
        .size:           8
        .value_kind:     global_buffer
      - .address_space:  global
        .offset:         56
        .size:           8
        .value_kind:     global_buffer
      - .address_space:  global
        .offset:         64
        .size:           8
        .value_kind:     global_buffer
      - .address_space:  global
        .offset:         72
        .size:           8
        .value_kind:     global_buffer
      - .offset:         80
        .size:           4
        .value_kind:     by_value
      - .address_space:  global
        .offset:         88
        .size:           8
        .value_kind:     global_buffer
      - .address_space:  global
        .offset:         96
        .size:           8
        .value_kind:     global_buffer
    .group_segment_fixed_size: 10752
    .kernarg_segment_align: 8
    .kernarg_segment_size: 104
    .language:       OpenCL C
    .language_version:
      - 2
      - 0
    .max_flat_workgroup_size: 224
    .name:           bluestein_single_fwd_len1344_dim1_sp_op_CI_CI
    .private_segment_fixed_size: 0
    .sgpr_count:     28
    .sgpr_spill_count: 0
    .symbol:         bluestein_single_fwd_len1344_dim1_sp_op_CI_CI.kd
    .uniform_work_group_size: 1
    .uses_dynamic_stack: false
    .vgpr_count:     126
    .vgpr_spill_count: 0
    .wavefront_size: 64
amdhsa.target:   amdgcn-amd-amdhsa--gfx950
amdhsa.version:
  - 1
  - 2
...

	.end_amdgpu_metadata
